;; amdgpu-corpus repo=ROCm/rocFFT kind=compiled arch=gfx1030 opt=O3
	.text
	.amdgcn_target "amdgcn-amd-amdhsa--gfx1030"
	.amdhsa_code_object_version 6
	.protected	fft_rtc_back_len484_factors_4_11_11_wgs_44_tpt_44_dp_ip_CI_sbrr_dirReg ; -- Begin function fft_rtc_back_len484_factors_4_11_11_wgs_44_tpt_44_dp_ip_CI_sbrr_dirReg
	.globl	fft_rtc_back_len484_factors_4_11_11_wgs_44_tpt_44_dp_ip_CI_sbrr_dirReg
	.p2align	8
	.type	fft_rtc_back_len484_factors_4_11_11_wgs_44_tpt_44_dp_ip_CI_sbrr_dirReg,@function
fft_rtc_back_len484_factors_4_11_11_wgs_44_tpt_44_dp_ip_CI_sbrr_dirReg: ; @fft_rtc_back_len484_factors_4_11_11_wgs_44_tpt_44_dp_ip_CI_sbrr_dirReg
; %bb.0:
	s_clause 0x2
	s_load_dwordx2 s[14:15], s[4:5], 0x18
	s_load_dwordx4 s[8:11], s[4:5], 0x0
	s_load_dwordx2 s[12:13], s[4:5], 0x50
	v_mul_u32_u24_e32 v1, 0x5d2, v0
	v_mov_b32_e32 v3, 0
	v_add_nc_u32_sdwa v5, s6, v1 dst_sel:DWORD dst_unused:UNUSED_PAD src0_sel:DWORD src1_sel:WORD_1
	v_mov_b32_e32 v1, 0
	v_mov_b32_e32 v6, v3
	v_mov_b32_e32 v2, 0
	s_waitcnt lgkmcnt(0)
	s_load_dwordx2 s[2:3], s[14:15], 0x0
	v_cmp_lt_u64_e64 s0, s[10:11], 2
	s_and_b32 vcc_lo, exec_lo, s0
	s_cbranch_vccnz .LBB0_8
; %bb.1:
	s_load_dwordx2 s[0:1], s[4:5], 0x10
	v_mov_b32_e32 v1, 0
	s_add_u32 s6, s14, 8
	v_mov_b32_e32 v2, 0
	s_addc_u32 s7, s15, 0
	s_mov_b64 s[18:19], 1
	s_waitcnt lgkmcnt(0)
	s_add_u32 s16, s0, 8
	s_addc_u32 s17, s1, 0
.LBB0_2:                                ; =>This Inner Loop Header: Depth=1
	s_load_dwordx2 s[20:21], s[16:17], 0x0
                                        ; implicit-def: $vgpr7_vgpr8
	s_mov_b32 s0, exec_lo
	s_waitcnt lgkmcnt(0)
	v_or_b32_e32 v4, s21, v6
	v_cmpx_ne_u64_e32 0, v[3:4]
	s_xor_b32 s1, exec_lo, s0
	s_cbranch_execz .LBB0_4
; %bb.3:                                ;   in Loop: Header=BB0_2 Depth=1
	v_cvt_f32_u32_e32 v4, s20
	v_cvt_f32_u32_e32 v7, s21
	s_sub_u32 s0, 0, s20
	s_subb_u32 s22, 0, s21
	v_fmac_f32_e32 v4, 0x4f800000, v7
	v_rcp_f32_e32 v4, v4
	v_mul_f32_e32 v4, 0x5f7ffffc, v4
	v_mul_f32_e32 v7, 0x2f800000, v4
	v_trunc_f32_e32 v7, v7
	v_fmac_f32_e32 v4, 0xcf800000, v7
	v_cvt_u32_f32_e32 v7, v7
	v_cvt_u32_f32_e32 v4, v4
	v_mul_lo_u32 v8, s0, v7
	v_mul_hi_u32 v9, s0, v4
	v_mul_lo_u32 v10, s22, v4
	v_add_nc_u32_e32 v8, v9, v8
	v_mul_lo_u32 v9, s0, v4
	v_add_nc_u32_e32 v8, v8, v10
	v_mul_hi_u32 v10, v4, v9
	v_mul_lo_u32 v11, v4, v8
	v_mul_hi_u32 v12, v4, v8
	v_mul_hi_u32 v13, v7, v9
	v_mul_lo_u32 v9, v7, v9
	v_mul_hi_u32 v14, v7, v8
	v_mul_lo_u32 v8, v7, v8
	v_add_co_u32 v10, vcc_lo, v10, v11
	v_add_co_ci_u32_e32 v11, vcc_lo, 0, v12, vcc_lo
	v_add_co_u32 v9, vcc_lo, v10, v9
	v_add_co_ci_u32_e32 v9, vcc_lo, v11, v13, vcc_lo
	v_add_co_ci_u32_e32 v10, vcc_lo, 0, v14, vcc_lo
	v_add_co_u32 v8, vcc_lo, v9, v8
	v_add_co_ci_u32_e32 v9, vcc_lo, 0, v10, vcc_lo
	v_add_co_u32 v4, vcc_lo, v4, v8
	v_add_co_ci_u32_e32 v7, vcc_lo, v7, v9, vcc_lo
	v_mul_hi_u32 v8, s0, v4
	v_mul_lo_u32 v10, s22, v4
	v_mul_lo_u32 v9, s0, v7
	v_add_nc_u32_e32 v8, v8, v9
	v_mul_lo_u32 v9, s0, v4
	v_add_nc_u32_e32 v8, v8, v10
	v_mul_hi_u32 v10, v4, v9
	v_mul_lo_u32 v11, v4, v8
	v_mul_hi_u32 v12, v4, v8
	v_mul_hi_u32 v13, v7, v9
	v_mul_lo_u32 v9, v7, v9
	v_mul_hi_u32 v14, v7, v8
	v_mul_lo_u32 v8, v7, v8
	v_add_co_u32 v10, vcc_lo, v10, v11
	v_add_co_ci_u32_e32 v11, vcc_lo, 0, v12, vcc_lo
	v_add_co_u32 v9, vcc_lo, v10, v9
	v_add_co_ci_u32_e32 v9, vcc_lo, v11, v13, vcc_lo
	v_add_co_ci_u32_e32 v10, vcc_lo, 0, v14, vcc_lo
	v_add_co_u32 v8, vcc_lo, v9, v8
	v_add_co_ci_u32_e32 v9, vcc_lo, 0, v10, vcc_lo
	v_add_co_u32 v4, vcc_lo, v4, v8
	v_add_co_ci_u32_e32 v11, vcc_lo, v7, v9, vcc_lo
	v_mul_hi_u32 v13, v5, v4
	v_mad_u64_u32 v[9:10], null, v6, v4, 0
	v_mad_u64_u32 v[7:8], null, v5, v11, 0
	;; [unrolled: 1-line block ×3, first 2 shown]
	v_add_co_u32 v4, vcc_lo, v13, v7
	v_add_co_ci_u32_e32 v7, vcc_lo, 0, v8, vcc_lo
	v_add_co_u32 v4, vcc_lo, v4, v9
	v_add_co_ci_u32_e32 v4, vcc_lo, v7, v10, vcc_lo
	v_add_co_ci_u32_e32 v7, vcc_lo, 0, v12, vcc_lo
	v_add_co_u32 v4, vcc_lo, v4, v11
	v_add_co_ci_u32_e32 v9, vcc_lo, 0, v7, vcc_lo
	v_mul_lo_u32 v10, s21, v4
	v_mad_u64_u32 v[7:8], null, s20, v4, 0
	v_mul_lo_u32 v11, s20, v9
	v_sub_co_u32 v7, vcc_lo, v5, v7
	v_add3_u32 v8, v8, v11, v10
	v_sub_nc_u32_e32 v10, v6, v8
	v_subrev_co_ci_u32_e64 v10, s0, s21, v10, vcc_lo
	v_add_co_u32 v11, s0, v4, 2
	v_add_co_ci_u32_e64 v12, s0, 0, v9, s0
	v_sub_co_u32 v13, s0, v7, s20
	v_sub_co_ci_u32_e32 v8, vcc_lo, v6, v8, vcc_lo
	v_subrev_co_ci_u32_e64 v10, s0, 0, v10, s0
	v_cmp_le_u32_e32 vcc_lo, s20, v13
	v_cmp_eq_u32_e64 s0, s21, v8
	v_cndmask_b32_e64 v13, 0, -1, vcc_lo
	v_cmp_le_u32_e32 vcc_lo, s21, v10
	v_cndmask_b32_e64 v14, 0, -1, vcc_lo
	v_cmp_le_u32_e32 vcc_lo, s20, v7
	;; [unrolled: 2-line block ×3, first 2 shown]
	v_cndmask_b32_e64 v15, 0, -1, vcc_lo
	v_cmp_eq_u32_e32 vcc_lo, s21, v10
	v_cndmask_b32_e64 v7, v15, v7, s0
	v_cndmask_b32_e32 v10, v14, v13, vcc_lo
	v_add_co_u32 v13, vcc_lo, v4, 1
	v_add_co_ci_u32_e32 v14, vcc_lo, 0, v9, vcc_lo
	v_cmp_ne_u32_e32 vcc_lo, 0, v10
	v_cndmask_b32_e32 v8, v14, v12, vcc_lo
	v_cndmask_b32_e32 v10, v13, v11, vcc_lo
	v_cmp_ne_u32_e32 vcc_lo, 0, v7
	v_cndmask_b32_e32 v8, v9, v8, vcc_lo
	v_cndmask_b32_e32 v7, v4, v10, vcc_lo
.LBB0_4:                                ;   in Loop: Header=BB0_2 Depth=1
	s_andn2_saveexec_b32 s0, s1
	s_cbranch_execz .LBB0_6
; %bb.5:                                ;   in Loop: Header=BB0_2 Depth=1
	v_cvt_f32_u32_e32 v4, s20
	s_sub_i32 s1, 0, s20
	v_rcp_iflag_f32_e32 v4, v4
	v_mul_f32_e32 v4, 0x4f7ffffe, v4
	v_cvt_u32_f32_e32 v4, v4
	v_mul_lo_u32 v7, s1, v4
	v_mul_hi_u32 v7, v4, v7
	v_add_nc_u32_e32 v4, v4, v7
	v_mul_hi_u32 v4, v5, v4
	v_mul_lo_u32 v7, v4, s20
	v_add_nc_u32_e32 v8, 1, v4
	v_sub_nc_u32_e32 v7, v5, v7
	v_subrev_nc_u32_e32 v9, s20, v7
	v_cmp_le_u32_e32 vcc_lo, s20, v7
	v_cndmask_b32_e32 v7, v7, v9, vcc_lo
	v_cndmask_b32_e32 v4, v4, v8, vcc_lo
	v_cmp_le_u32_e32 vcc_lo, s20, v7
	v_add_nc_u32_e32 v8, 1, v4
	v_cndmask_b32_e32 v7, v4, v8, vcc_lo
	v_mov_b32_e32 v8, v3
.LBB0_6:                                ;   in Loop: Header=BB0_2 Depth=1
	s_or_b32 exec_lo, exec_lo, s0
	s_load_dwordx2 s[0:1], s[6:7], 0x0
	v_mul_lo_u32 v4, v8, s20
	v_mul_lo_u32 v11, v7, s21
	v_mad_u64_u32 v[9:10], null, v7, s20, 0
	s_add_u32 s18, s18, 1
	s_addc_u32 s19, s19, 0
	s_add_u32 s6, s6, 8
	s_addc_u32 s7, s7, 0
	;; [unrolled: 2-line block ×3, first 2 shown]
	v_add3_u32 v4, v10, v11, v4
	v_sub_co_u32 v5, vcc_lo, v5, v9
	v_sub_co_ci_u32_e32 v4, vcc_lo, v6, v4, vcc_lo
	s_waitcnt lgkmcnt(0)
	v_mul_lo_u32 v6, s1, v5
	v_mul_lo_u32 v4, s0, v4
	v_mad_u64_u32 v[1:2], null, s0, v5, v[1:2]
	v_cmp_ge_u64_e64 s0, s[18:19], s[10:11]
	s_and_b32 vcc_lo, exec_lo, s0
	v_add3_u32 v2, v6, v2, v4
	s_cbranch_vccnz .LBB0_9
; %bb.7:                                ;   in Loop: Header=BB0_2 Depth=1
	v_mov_b32_e32 v5, v7
	v_mov_b32_e32 v6, v8
	s_branch .LBB0_2
.LBB0_8:
	v_mov_b32_e32 v8, v6
	v_mov_b32_e32 v7, v5
.LBB0_9:
	s_lshl_b64 s[0:1], s[10:11], 3
	v_mul_hi_u32 v3, 0x5d1745e, v0
	s_add_u32 s0, s14, s0
	s_addc_u32 s1, s15, s1
                                        ; implicit-def: $vgpr41
                                        ; implicit-def: $vgpr40
	s_load_dwordx2 s[0:1], s[0:1], 0x0
	s_load_dwordx2 s[4:5], s[4:5], 0x20
	v_mul_u32_u24_e32 v3, 44, v3
	v_sub_nc_u32_e32 v97, v0, v3
	v_add_nc_u32_e32 v96, 44, v97
	v_add_nc_u32_e32 v94, 0x58, v97
	s_waitcnt lgkmcnt(0)
	v_mul_lo_u32 v4, s0, v8
	v_mul_lo_u32 v5, s1, v7
	v_mad_u64_u32 v[1:2], null, s0, v7, v[1:2]
	v_cmp_gt_u64_e32 vcc_lo, s[4:5], v[7:8]
	v_cmp_le_u64_e64 s0, s[4:5], v[7:8]
	v_add3_u32 v2, v5, v2, v4
	s_and_saveexec_b32 s1, s0
	s_xor_b32 s0, exec_lo, s1
; %bb.10:
	v_add_nc_u32_e32 v41, 44, v97
	v_add_nc_u32_e32 v40, 0x58, v97
; %bb.11:
	s_or_saveexec_b32 s1, s0
	v_lshlrev_b64 v[84:85], 4, v[1:2]
	v_lshl_add_u32 v86, v97, 4, 0
	v_add_nc_u32_e32 v95, 0x84, v97
	v_add_nc_u32_e32 v93, 0xb0, v97
	;; [unrolled: 1-line block ×8, first 2 shown]
	s_xor_b32 exec_lo, exec_lo, s1
	s_cbranch_execz .LBB0_13
; %bb.12:
	v_mad_u64_u32 v[0:1], null, s2, v97, 0
	v_mad_u64_u32 v[2:3], null, s2, v96, 0
	;; [unrolled: 1-line block ×6, first 2 shown]
	v_mov_b32_e32 v1, v3
	v_mad_u64_u32 v[10:11], null, s2, v95, 0
	v_mov_b32_e32 v12, v17
	v_mov_b32_e32 v13, v19
	v_mad_u64_u32 v[5:6], null, s3, v96, v[1:2]
	v_mov_b32_e32 v1, v4
	v_mov_b32_e32 v4, v9
	;; [unrolled: 1-line block ×3, first 2 shown]
	v_mad_u64_u32 v[14:15], null, s3, v93, v[12:13]
	v_lshlrev_b64 v[0:1], 4, v[0:1]
	v_mov_b32_e32 v3, v5
	v_mad_u64_u32 v[4:5], null, s3, v94, v[4:5]
	v_mad_u64_u32 v[5:6], null, s3, v95, v[6:7]
	v_add_co_u32 v40, s0, s12, v84
	v_add_co_ci_u32_e64 v41, s0, s13, v85, s0
	v_mov_b32_e32 v9, v4
	v_lshlrev_b64 v[2:3], 4, v[2:3]
	v_mad_u64_u32 v[12:13], null, s3, v92, v[13:14]
	v_mov_b32_e32 v11, v5
	v_add_co_u32 v0, s0, v40, v0
	v_lshlrev_b64 v[8:9], 4, v[8:9]
	v_add_co_ci_u32_e64 v1, s0, v41, v1, s0
	v_mad_u64_u32 v[24:25], null, s2, v91, 0
	v_mov_b32_e32 v17, v14
	v_add_co_u32 v6, s0, v40, v2
	v_lshlrev_b64 v[10:11], 4, v[10:11]
	v_add_co_ci_u32_e64 v7, s0, v41, v3, s0
	v_mov_b32_e32 v19, v12
	v_add_co_u32 v8, s0, v40, v8
	v_lshlrev_b64 v[16:17], 4, v[16:17]
	v_add_co_ci_u32_e64 v9, s0, v41, v9, s0
	v_add_co_u32 v20, s0, v40, v10
	v_mov_b32_e32 v22, v25
	v_lshlrev_b64 v[18:19], 4, v[18:19]
	v_mad_u64_u32 v[26:27], null, s2, v90, 0
	v_mad_u64_u32 v[28:29], null, s2, v89, 0
	v_add_co_ci_u32_e64 v21, s0, v41, v11, s0
	v_add_co_u32 v16, s0, v40, v16
	s_clause 0x3
	global_load_dwordx4 v[0:3], v[0:1], off
	global_load_dwordx4 v[4:7], v[6:7], off
	;; [unrolled: 1-line block ×4, first 2 shown]
	v_mad_u64_u32 v[20:21], null, s3, v91, v[22:23]
	v_add_co_ci_u32_e64 v17, s0, v41, v17, s0
	v_add_co_u32 v21, s0, v40, v18
	v_add_co_ci_u32_e64 v22, s0, v41, v19, s0
	v_mov_b32_e32 v18, v27
	v_mov_b32_e32 v19, v29
	v_mad_u64_u32 v[30:31], null, s2, v88, 0
	v_mov_b32_e32 v25, v20
	v_mad_u64_u32 v[32:33], null, s3, v90, v[18:19]
	v_mad_u64_u32 v[33:34], null, s3, v89, v[19:20]
	;; [unrolled: 1-line block ×3, first 2 shown]
	v_lshlrev_b64 v[24:25], 4, v[24:25]
	s_clause 0x1
	global_load_dwordx4 v[16:19], v[16:17], off
	global_load_dwordx4 v[20:23], v[21:22], off
	v_mov_b32_e32 v27, v32
	v_mad_u64_u32 v[31:32], null, s3, v88, v[31:32]
	v_mov_b32_e32 v29, v33
	v_mov_b32_e32 v32, v35
	v_lshlrev_b64 v[26:27], 4, v[26:27]
	v_add_co_u32 v24, s0, v40, v24
	v_lshlrev_b64 v[28:29], 4, v[28:29]
	v_mad_u64_u32 v[32:33], null, s3, v87, v[32:33]
	v_add_co_ci_u32_e64 v25, s0, v41, v25, s0
	v_add_co_u32 v36, s0, v40, v26
	v_add_co_ci_u32_e64 v37, s0, v41, v27, s0
	v_mov_b32_e32 v35, v32
	v_lshlrev_b64 v[26:27], 4, v[30:31]
	v_add_co_u32 v32, s0, v40, v28
	v_add_co_ci_u32_e64 v33, s0, v41, v29, s0
	v_lshlrev_b64 v[28:29], 4, v[34:35]
	v_add_co_u32 v38, s0, v40, v26
	v_add_co_ci_u32_e64 v39, s0, v41, v27, s0
	v_add_co_u32 v40, s0, v40, v28
	v_add_co_ci_u32_e64 v41, s0, v41, v29, s0
	s_clause 0x4
	global_load_dwordx4 v[24:27], v[24:25], off
	global_load_dwordx4 v[28:31], v[36:37], off
	;; [unrolled: 1-line block ×5, first 2 shown]
	v_mov_b32_e32 v40, v94
	v_mov_b32_e32 v41, v96
	s_waitcnt vmcnt(10)
	ds_write_b128 v86, v[0:3]
	s_waitcnt vmcnt(9)
	ds_write_b128 v86, v[4:7] offset:704
	s_waitcnt vmcnt(8)
	ds_write_b128 v86, v[8:11] offset:1408
	;; [unrolled: 2-line block ×10, first 2 shown]
.LBB0_13:
	s_or_b32 exec_lo, exec_lo, s1
	s_waitcnt lgkmcnt(0)
	s_barrier
	buffer_gl0_inv
	ds_read_b128 v[16:19], v86 offset:3872
	ds_read_b128 v[20:23], v86
	ds_read_b128 v[24:27], v86 offset:1936
	ds_read_b128 v[28:31], v86 offset:5808
	;; [unrolled: 1-line block ×10, first 2 shown]
	s_mov_b32 s1, exec_lo
	s_waitcnt lgkmcnt(0)
	s_barrier
	buffer_gl0_inv
	v_add_f64 v[50:51], v[20:21], -v[16:17]
	v_add_f64 v[52:53], v[22:23], -v[18:19]
	;; [unrolled: 1-line block ×8, first 2 shown]
	v_fma_f64 v[48:49], v[20:21], 2.0, -v[50:51]
	v_fma_f64 v[54:55], v[22:23], 2.0, -v[52:53]
	;; [unrolled: 1-line block ×8, first 2 shown]
	v_add_f64 v[16:17], v[50:51], v[16:17]
	v_add_f64 v[18:19], v[52:53], -v[18:19]
	v_add_f64 v[20:21], v[36:37], v[28:29]
	v_lshl_add_u32 v42, v41, 6, 0
	v_add_f64 v[24:25], v[48:49], -v[22:23]
	v_add_f64 v[26:27], v[54:55], -v[26:27]
	v_add_f64 v[22:23], v[38:39], -v[46:47]
	v_add_f64 v[28:29], v[56:57], -v[30:31]
	v_add_f64 v[30:31], v[58:59], -v[32:33]
	v_fma_f64 v[32:33], v[50:51], 2.0, -v[16:17]
	v_fma_f64 v[34:35], v[52:53], 2.0, -v[18:19]
	v_fma_f64 v[36:37], v[36:37], 2.0, -v[20:21]
	v_mad_u32_u24 v51, v97, 48, v86
	v_fma_f64 v[43:44], v[48:49], 2.0, -v[24:25]
	v_fma_f64 v[45:46], v[54:55], 2.0, -v[26:27]
	;; [unrolled: 1-line block ×5, first 2 shown]
	ds_write_b128 v51, v[16:19] offset:48
	ds_write_b128 v51, v[32:35] offset:16
	;; [unrolled: 1-line block ×3, first 2 shown]
	ds_write_b128 v51, v[43:46]
	ds_write_b128 v42, v[47:50]
	ds_write_b128 v42, v[36:39] offset:16
	ds_write_b128 v42, v[28:31] offset:32
	;; [unrolled: 1-line block ×3, first 2 shown]
	v_cmpx_gt_u32_e32 33, v97
	s_cbranch_execz .LBB0_15
; %bb.14:
	v_add_f64 v[10:11], v[2:3], -v[10:11]
	v_add_f64 v[14:15], v[6:7], -v[14:15]
	;; [unrolled: 1-line block ×4, first 2 shown]
	v_fma_f64 v[16:17], v[2:3], 2.0, -v[10:11]
	v_fma_f64 v[6:7], v[6:7], 2.0, -v[14:15]
	;; [unrolled: 1-line block ×4, first 2 shown]
	v_add_f64 v[2:3], v[10:11], -v[12:13]
	v_add_f64 v[0:1], v[8:9], v[14:15]
	v_add_f64 v[6:7], v[16:17], -v[6:7]
	v_add_f64 v[4:5], v[18:19], -v[4:5]
	v_fma_f64 v[10:11], v[10:11], 2.0, -v[2:3]
	v_fma_f64 v[8:9], v[8:9], 2.0, -v[0:1]
	;; [unrolled: 1-line block ×3, first 2 shown]
	v_lshl_add_u32 v16, v40, 6, 0
	v_fma_f64 v[12:13], v[18:19], 2.0, -v[4:5]
	ds_write_b128 v16, v[8:11] offset:16
	ds_write_b128 v16, v[4:7] offset:32
	ds_write_b128 v16, v[12:15]
	ds_write_b128 v16, v[0:3] offset:48
.LBB0_15:
	s_or_b32 exec_lo, exec_lo, s1
	v_and_b32_e32 v100, 3, v97
	s_waitcnt lgkmcnt(0)
	s_barrier
	buffer_gl0_inv
	v_mad_i32_i24 v99, 0xffffffd0, v41, v42
	v_mul_u32_u24_e32 v0, 10, v100
	v_lshl_add_u32 v98, v40, 4, 0
	s_mov_b32 s0, 0xf8bb580b
	s_mov_b32 s6, 0x8764f0ba
	;; [unrolled: 1-line block ×3, first 2 shown]
	v_lshlrev_b32_e32 v12, 4, v0
	s_mov_b32 s18, 0x43842ef
	s_mov_b32 s24, 0xbb3a28a1
	;; [unrolled: 1-line block ×4, first 2 shown]
	s_clause 0x9
	global_load_dwordx4 v[0:3], v12, s[8:9]
	global_load_dwordx4 v[8:11], v12, s[8:9] offset:144
	global_load_dwordx4 v[4:7], v12, s[8:9] offset:16
	;; [unrolled: 1-line block ×9, first 2 shown]
	ds_read_b128 v[48:51], v86 offset:7040
	ds_read_b128 v[44:47], v86 offset:2816
	;; [unrolled: 1-line block ×7, first 2 shown]
	ds_read_b128 v[72:75], v99
	ds_read_b128 v[80:83], v98
	ds_read_b128 v[76:79], v86 offset:2112
	ds_read_b128 v[60:63], v86
	s_mov_b32 s7, 0x3feaeb8c
	s_mov_b32 s11, 0xbfed1bb4
	;; [unrolled: 1-line block ×13, first 2 shown]
	v_lshrrev_b32_e32 v121, 2, v97
	s_mov_b32 s5, 0x3fe14ced
	s_mov_b32 s4, s0
	s_mov_b32 s17, 0x3fed1bb4
	s_mov_b32 s21, 0x3fefac9e
	s_mov_b32 s37, 0x3fd207e7
	s_mov_b32 s16, s10
	s_mov_b32 s20, s18
	s_mov_b32 s36, s30
	s_mov_b32 s27, 0x3fe82f19
	s_mov_b32 s26, s24
	v_mul_u32_u24_e32 v251, 44, v121
	s_waitcnt vmcnt(0) lgkmcnt(0)
	s_barrier
	buffer_gl0_inv
	v_mul_f64 v[101:102], v[72:73], v[2:3]
	v_mul_f64 v[103:104], v[48:49], v[10:11]
	;; [unrolled: 1-line block ×20, first 2 shown]
	v_fma_f64 v[74:75], v[74:75], v[0:1], -v[101:102]
	v_fma_f64 v[50:51], v[50:51], v[8:9], -v[103:104]
	v_fma_f64 v[0:1], v[72:73], v[0:1], v[2:3]
	v_fma_f64 v[48:49], v[48:49], v[8:9], v[10:11]
	v_fma_f64 v[82:83], v[82:83], v[4:5], -v[105:106]
	v_fma_f64 v[70:71], v[70:71], v[36:37], -v[107:108]
	;; [unrolled: 1-line block ×3, first 2 shown]
	v_fma_f64 v[2:3], v[80:81], v[4:5], v[6:7]
	v_fma_f64 v[4:5], v[68:69], v[36:37], v[38:39]
	;; [unrolled: 1-line block ×4, first 2 shown]
	v_fma_f64 v[20:21], v[42:43], v[20:21], -v[22:23]
	v_fma_f64 v[10:11], v[44:45], v[16:17], v[113:114]
	v_fma_f64 v[16:17], v[46:47], v[16:17], -v[18:19]
	v_fma_f64 v[66:67], v[66:67], v[28:29], -v[111:112]
	v_fma_f64 v[8:9], v[64:65], v[28:29], v[30:31]
	v_fma_f64 v[22:23], v[54:55], v[12:13], -v[119:120]
	v_fma_f64 v[12:13], v[52:53], v[12:13], v[14:15]
	;; [unrolled: 2-line block ×3, first 2 shown]
	v_add_f64 v[42:43], v[62:63], v[74:75]
	v_add_f64 v[14:15], v[74:75], -v[50:51]
	v_add_f64 v[28:29], v[74:75], v[50:51]
	v_add_f64 v[38:39], v[0:1], v[48:49]
	v_add_f64 v[40:41], v[0:1], -v[48:49]
	v_add_f64 v[0:1], v[60:61], v[0:1]
	v_add_f64 v[30:31], v[82:83], -v[70:71]
	v_add_f64 v[32:33], v[82:83], v[70:71]
	v_add_f64 v[44:45], v[2:3], v[4:5]
	v_add_f64 v[46:47], v[2:3], -v[4:5]
	v_add_f64 v[34:35], v[78:79], -v[66:67]
	v_add_f64 v[36:37], v[78:79], v[66:67]
	v_add_f64 v[72:73], v[20:21], -v[22:23]
	v_add_f64 v[76:77], v[20:21], v[22:23]
	;; [unrolled: 2-line block ×3, first 2 shown]
	v_add_f64 v[52:53], v[6:7], v[8:9]
	v_add_f64 v[54:55], v[6:7], -v[8:9]
	v_add_f64 v[58:59], v[10:11], v[24:25]
	v_mul_f64 v[101:102], v[14:15], s[0:1]
	v_mul_f64 v[103:104], v[14:15], s[10:11]
	v_mul_f64 v[105:106], v[14:15], s[18:19]
	v_mul_f64 v[107:108], v[14:15], s[24:25]
	v_add_f64 v[0:1], v[0:1], v[2:3]
	v_add_f64 v[2:3], v[42:43], v[82:83]
	v_mul_f64 v[14:15], v[14:15], s[30:31]
	v_mul_f64 v[109:110], v[28:29], s[6:7]
	;; [unrolled: 1-line block ×8, first 2 shown]
	v_add_f64 v[68:69], v[10:11], -v[24:25]
	v_add_f64 v[74:75], v[26:27], v[12:13]
	v_add_f64 v[80:81], v[26:27], -v[12:13]
	v_mul_f64 v[121:122], v[34:35], s[18:19]
	v_mul_f64 v[123:124], v[36:37], s[22:23]
	;; [unrolled: 1-line block ×5, first 2 shown]
	v_fma_f64 v[177:178], v[38:39], s[6:7], v[101:102]
	v_fma_f64 v[101:102], v[38:39], s[6:7], -v[101:102]
	v_fma_f64 v[179:180], v[38:39], s[14:15], v[103:104]
	v_fma_f64 v[103:104], v[38:39], s[14:15], -v[103:104]
	v_add_f64 v[0:1], v[0:1], v[6:7]
	v_add_f64 v[2:3], v[2:3], v[78:79]
	v_fma_f64 v[181:182], v[38:39], s[22:23], v[105:106]
	v_fma_f64 v[105:106], v[38:39], s[22:23], -v[105:106]
	v_fma_f64 v[183:184], v[38:39], s[28:29], v[107:108]
	v_fma_f64 v[107:108], v[38:39], s[28:29], -v[107:108]
	;; [unrolled: 2-line block ×3, first 2 shown]
	v_fma_f64 v[38:39], v[40:41], s[4:5], v[109:110]
	v_mul_f64 v[131:132], v[36:37], s[34:35]
	v_mul_f64 v[133:134], v[30:31], s[36:37]
	;; [unrolled: 1-line block ×13, first 2 shown]
	v_add_f64 v[0:1], v[0:1], v[10:11]
	v_add_f64 v[2:3], v[2:3], v[16:17]
	v_mul_f64 v[82:83], v[56:57], s[24:25]
	v_mul_f64 v[147:148], v[56:57], s[20:21]
	;; [unrolled: 1-line block ×20, first 2 shown]
	v_fma_f64 v[109:110], v[40:41], s[0:1], v[109:110]
	v_fma_f64 v[187:188], v[40:41], s[16:17], v[111:112]
	;; [unrolled: 1-line block ×9, first 2 shown]
	v_add_f64 v[0:1], v[0:1], v[26:27]
	v_add_f64 v[2:3], v[2:3], v[20:21]
	v_fma_f64 v[40:41], v[44:45], s[14:15], v[117:118]
	v_fma_f64 v[195:196], v[46:47], s[16:17], v[119:120]
	v_add_f64 v[20:21], v[60:61], v[177:178]
	v_add_f64 v[26:27], v[62:63], v[38:39]
	v_fma_f64 v[197:198], v[52:53], s[22:23], v[121:122]
	v_fma_f64 v[117:118], v[44:45], s[14:15], -v[117:118]
	v_fma_f64 v[119:120], v[46:47], s[10:11], v[119:120]
	v_fma_f64 v[121:122], v[52:53], s[22:23], -v[121:122]
	v_fma_f64 v[199:200], v[44:45], s[28:29], v[125:126]
	v_fma_f64 v[201:202], v[46:47], s[26:27], v[127:128]
	;; [unrolled: 1-line block ×9, first 2 shown]
	v_fma_f64 v[78:79], v[44:45], s[28:29], -v[125:126]
	v_fma_f64 v[125:126], v[44:45], s[34:35], -v[133:134]
	;; [unrolled: 1-line block ×3, first 2 shown]
	v_fma_f64 v[141:142], v[44:45], s[6:7], v[30:31]
	v_fma_f64 v[30:31], v[44:45], s[6:7], -v[30:31]
	v_fma_f64 v[44:45], v[46:47], s[24:25], v[127:128]
	v_fma_f64 v[127:128], v[46:47], s[36:37], v[135:136]
	;; [unrolled: 1-line block ×5, first 2 shown]
	v_fma_f64 v[46:47], v[52:53], s[34:35], -v[129:130]
	v_fma_f64 v[129:130], v[52:53], s[14:15], -v[137:138]
	;; [unrolled: 1-line block ×3, first 2 shown]
	v_fma_f64 v[145:146], v[52:53], s[28:29], v[34:35]
	v_fma_f64 v[34:35], v[52:53], s[28:29], -v[34:35]
	v_fma_f64 v[52:53], v[54:55], s[20:21], v[123:124]
	v_fma_f64 v[123:124], v[54:55], s[18:19], v[123:124]
	;; [unrolled: 1-line block ×11, first 2 shown]
	v_fma_f64 v[82:83], v[58:59], s[28:29], -v[82:83]
	v_fma_f64 v[223:224], v[58:59], s[22:23], v[147:148]
	v_fma_f64 v[147:148], v[58:59], s[22:23], -v[147:148]
	v_fma_f64 v[225:226], v[58:59], s[6:7], v[149:150]
	;; [unrolled: 2-line block ×5, first 2 shown]
	v_fma_f64 v[153:154], v[68:69], s[24:25], v[153:154]
	v_fma_f64 v[231:232], v[68:69], s[18:19], v[155:156]
	;; [unrolled: 1-line block ×10, first 2 shown]
	v_fma_f64 v[16:17], v[74:75], s[34:35], -v[161:162]
	v_fma_f64 v[68:69], v[74:75], s[6:7], v[163:164]
	v_fma_f64 v[161:162], v[74:75], s[6:7], -v[163:164]
	v_fma_f64 v[163:164], v[74:75], s[28:29], v[165:166]
	;; [unrolled: 2-line block ×5, first 2 shown]
	v_fma_f64 v[169:170], v[80:81], s[30:31], v[169:170]
	v_fma_f64 v[243:244], v[80:81], s[0:1], v[171:172]
	;; [unrolled: 1-line block ×9, first 2 shown]
	v_add_f64 v[38:39], v[60:61], v[101:102]
	v_add_f64 v[80:81], v[62:63], v[109:110]
	;; [unrolled: 1-line block ×108, first 2 shown]
	v_or_b32_e32 v44, v251, v100
	v_mul_u32_u24_e32 v45, 10, v97
	v_lshl_add_u32 v44, v44, 4, 0
	v_lshlrev_b32_e32 v48, 4, v45
	ds_write_b128 v44, v[0:3] offset:64
	ds_write_b128 v44, v[8:11] offset:128
	;; [unrolled: 1-line block ×10, first 2 shown]
	ds_write_b128 v44, v[40:43]
	s_waitcnt lgkmcnt(0)
	s_barrier
	buffer_gl0_inv
	s_clause 0x9
	global_load_dwordx4 v[6:9], v48, s[8:9] offset:640
	global_load_dwordx4 v[10:13], v48, s[8:9] offset:784
	;; [unrolled: 1-line block ×10, first 2 shown]
	ds_read_b128 v[34:37], v99
	ds_read_b128 v[52:55], v86 offset:7040
	ds_read_b128 v[56:59], v98
	ds_read_b128 v[60:63], v86 offset:6336
	ds_read_b128 v[64:67], v86 offset:2112
	;; [unrolled: 1-line block ×7, first 2 shown]
	ds_read_b128 v[0:3], v86
	s_waitcnt vmcnt(0) lgkmcnt(0)
	s_barrier
	buffer_gl0_inv
	v_mul_f64 v[4:5], v[34:35], v[8:9]
	v_mul_f64 v[110:111], v[36:37], v[8:9]
	;; [unrolled: 1-line block ×20, first 2 shown]
	v_fma_f64 v[124:125], v[36:37], v[6:7], -v[4:5]
	v_fma_f64 v[8:9], v[62:63], v[18:19], -v[104:105]
	v_fma_f64 v[62:63], v[34:35], v[6:7], v[110:111]
	v_fma_f64 v[6:7], v[52:53], v[10:11], v[112:113]
	v_fma_f64 v[4:5], v[54:55], v[10:11], -v[38:39]
	v_fma_f64 v[36:37], v[58:59], v[14:15], -v[102:103]
	;; [unrolled: 1-line block ×3, first 2 shown]
	v_fma_f64 v[38:39], v[56:57], v[14:15], v[16:17]
	v_fma_f64 v[10:11], v[60:61], v[18:19], v[20:21]
	v_fma_f64 v[12:13], v[70:71], v[26:27], -v[108:109]
	v_fma_f64 v[34:35], v[64:65], v[22:23], v[24:25]
	v_fma_f64 v[14:15], v[68:69], v[26:27], v[28:29]
	;; [unrolled: 1-line block ×3, first 2 shown]
	v_fma_f64 v[26:27], v[82:83], v[44:45], -v[46:47]
	v_fma_f64 v[20:21], v[100:101], v[48:49], -v[122:123]
	v_fma_f64 v[22:23], v[98:99], v[48:49], v[50:51]
	v_fma_f64 v[28:29], v[72:73], v[30:31], v[114:115]
	v_fma_f64 v[30:31], v[74:75], v[30:31], -v[116:117]
	v_fma_f64 v[16:17], v[78:79], v[40:41], -v[118:119]
	v_fma_f64 v[18:19], v[76:77], v[40:41], v[42:43]
	v_add_f64 v[66:67], v[2:3], v[124:125]
	v_add_f64 v[58:59], v[62:63], v[6:7]
	v_add_f64 v[56:57], v[62:63], -v[6:7]
	v_add_f64 v[62:63], v[0:1], v[62:63]
	v_add_f64 v[52:53], v[36:37], -v[8:9]
	v_add_f64 v[54:55], v[36:37], v[8:9]
	v_add_f64 v[46:47], v[38:39], v[10:11]
	v_add_f64 v[44:45], v[38:39], -v[10:11]
	v_add_f64 v[50:51], v[124:125], -v[4:5]
	v_add_f64 v[48:49], v[124:125], v[4:5]
	v_add_f64 v[60:61], v[32:33], -v[12:13]
	v_add_f64 v[64:65], v[32:33], v[12:13]
	v_add_f64 v[42:43], v[34:35], v[14:15]
	v_add_f64 v[40:41], v[34:35], -v[14:15]
	v_add_f64 v[76:77], v[26:27], -v[20:21]
	v_add_f64 v[80:81], v[26:27], v[20:21]
	v_add_f64 v[68:69], v[30:31], -v[16:17]
	v_add_f64 v[72:73], v[30:31], v[16:17]
	v_add_f64 v[36:37], v[66:67], v[36:37]
	;; [unrolled: 1-line block ×3, first 2 shown]
	v_add_f64 v[74:75], v[28:29], -v[18:19]
	v_add_f64 v[78:79], v[24:25], v[22:23]
	v_add_f64 v[82:83], v[24:25], -v[22:23]
	v_add_f64 v[38:39], v[62:63], v[38:39]
	v_mul_f64 v[114:115], v[52:53], s[10:11]
	v_mul_f64 v[116:117], v[54:55], s[14:15]
	;; [unrolled: 1-line block ×14, first 2 shown]
	v_add_f64 v[32:33], v[36:37], v[32:33]
	v_mul_f64 v[118:119], v[60:61], s[18:19]
	v_mul_f64 v[120:121], v[64:65], s[22:23]
	;; [unrolled: 1-line block ×6, first 2 shown]
	v_add_f64 v[34:35], v[38:39], v[34:35]
	v_mul_f64 v[134:135], v[60:61], s[16:17]
	v_mul_f64 v[136:137], v[64:65], s[14:15]
	v_mul_f64 v[62:63], v[52:53], s[20:21]
	v_mul_f64 v[52:53], v[52:53], s[4:5]
	v_fma_f64 v[174:175], v[58:59], s[6:7], v[98:99]
	v_fma_f64 v[98:99], v[58:59], s[6:7], -v[98:99]
	v_fma_f64 v[176:177], v[58:59], s[14:15], v[100:101]
	v_fma_f64 v[100:101], v[58:59], s[14:15], -v[100:101]
	;; [unrolled: 2-line block ×5, first 2 shown]
	v_add_f64 v[30:31], v[32:33], v[30:31]
	v_fma_f64 v[58:59], v[56:57], s[4:5], v[106:107]
	v_mul_f64 v[66:67], v[54:55], s[22:23]
	v_mul_f64 v[54:55], v[54:55], s[6:7]
	;; [unrolled: 1-line block ×5, first 2 shown]
	v_add_f64 v[28:29], v[34:35], v[28:29]
	v_mul_f64 v[64:65], v[64:65], s[28:29]
	v_mul_f64 v[142:143], v[68:69], s[24:25]
	;; [unrolled: 1-line block ×21, first 2 shown]
	v_fma_f64 v[106:107], v[56:57], s[0:1], v[106:107]
	v_fma_f64 v[184:185], v[56:57], s[16:17], v[108:109]
	;; [unrolled: 1-line block ×9, first 2 shown]
	v_add_f64 v[24:25], v[28:29], v[24:25]
	v_add_f64 v[26:27], v[30:31], v[26:27]
	v_fma_f64 v[56:57], v[46:47], s[14:15], v[114:115]
	v_fma_f64 v[192:193], v[44:45], s[16:17], v[116:117]
	v_add_f64 v[28:29], v[0:1], v[174:175]
	v_add_f64 v[30:31], v[2:3], v[58:59]
	v_fma_f64 v[194:195], v[42:43], s[22:23], v[118:119]
	v_fma_f64 v[114:115], v[46:47], s[14:15], -v[114:115]
	v_fma_f64 v[116:117], v[44:45], s[10:11], v[116:117]
	v_fma_f64 v[118:119], v[42:43], s[22:23], -v[118:119]
	v_fma_f64 v[196:197], v[46:47], s[28:29], v[122:123]
	v_fma_f64 v[198:199], v[44:45], s[26:27], v[124:125]
	;; [unrolled: 1-line block ×5, first 2 shown]
	v_fma_f64 v[36:37], v[46:47], s[28:29], -v[122:123]
	v_fma_f64 v[38:39], v[46:47], s[34:35], -v[130:131]
	v_fma_f64 v[122:123], v[46:47], s[22:23], v[62:63]
	v_fma_f64 v[62:63], v[46:47], s[22:23], -v[62:63]
	v_fma_f64 v[130:131], v[46:47], s[6:7], v[52:53]
	;; [unrolled: 2-line block ×3, first 2 shown]
	v_fma_f64 v[124:125], v[44:45], s[36:37], v[132:133]
	v_fma_f64 v[132:133], v[44:45], s[18:19], v[66:67]
	;; [unrolled: 1-line block ×6, first 2 shown]
	v_fma_f64 v[126:127], v[42:43], s[34:35], -v[126:127]
	v_fma_f64 v[134:135], v[42:43], s[14:15], -v[134:135]
	v_fma_f64 v[208:209], v[42:43], s[6:7], v[138:139]
	v_fma_f64 v[138:139], v[42:43], s[6:7], -v[138:139]
	v_fma_f64 v[210:211], v[42:43], s[28:29], v[60:61]
	;; [unrolled: 2-line block ×3, first 2 shown]
	v_fma_f64 v[120:121], v[40:41], s[18:19], v[120:121]
	v_fma_f64 v[212:213], v[40:41], s[30:31], v[128:129]
	;; [unrolled: 1-line block ×10, first 2 shown]
	v_fma_f64 v[142:143], v[70:71], s[28:29], -v[142:143]
	v_fma_f64 v[220:221], v[70:71], s[22:23], v[144:145]
	v_fma_f64 v[144:145], v[70:71], s[22:23], -v[144:145]
	v_fma_f64 v[222:223], v[70:71], s[6:7], v[146:147]
	;; [unrolled: 2-line block ×5, first 2 shown]
	v_fma_f64 v[150:151], v[74:75], s[24:25], v[150:151]
	v_fma_f64 v[228:229], v[74:75], s[18:19], v[152:153]
	;; [unrolled: 1-line block ×10, first 2 shown]
	v_fma_f64 v[34:35], v[78:79], s[34:35], -v[158:159]
	v_fma_f64 v[74:75], v[78:79], s[6:7], v[160:161]
	v_fma_f64 v[158:159], v[78:79], s[6:7], -v[160:161]
	v_fma_f64 v[160:161], v[78:79], s[28:29], v[162:163]
	;; [unrolled: 2-line block ×5, first 2 shown]
	v_fma_f64 v[166:167], v[82:83], s[30:31], v[166:167]
	v_fma_f64 v[240:241], v[82:83], s[0:1], v[168:169]
	;; [unrolled: 1-line block ×9, first 2 shown]
	v_add_f64 v[58:59], v[0:1], v[98:99]
	v_add_f64 v[82:83], v[2:3], v[106:107]
	v_add_f64 v[98:99], v[0:1], v[176:177]
	v_add_f64 v[106:107], v[2:3], v[184:185]
	v_add_f64 v[174:175], v[0:1], v[178:179]
	v_add_f64 v[176:177], v[2:3], v[186:187]
	v_add_f64 v[100:101], v[0:1], v[100:101]
	v_add_f64 v[102:103], v[0:1], v[102:103]
	v_add_f64 v[178:179], v[0:1], v[180:181]
	v_add_f64 v[180:181], v[2:3], v[188:189]
	v_add_f64 v[104:105], v[0:1], v[104:105]
	v_add_f64 v[182:183], v[0:1], v[182:183]
	v_add_f64 v[184:185], v[2:3], v[190:191]
	v_add_f64 v[0:1], v[0:1], v[50:51]
	v_add_f64 v[48:49], v[2:3], v[48:49]
	v_add_f64 v[50:51], v[2:3], v[112:113]
	v_add_f64 v[110:111], v[2:3], v[110:111]
	v_add_f64 v[2:3], v[2:3], v[108:109]
	v_add_f64 v[22:23], v[24:25], v[22:23]
	v_add_f64 v[20:21], v[26:27], v[20:21]
	v_add_f64 v[24:25], v[56:57], v[28:29]
	v_add_f64 v[26:27], v[192:193], v[30:31]
	v_add_f64 v[28:29], v[114:115], v[58:59]
	v_add_f64 v[30:31], v[116:117], v[82:83]
	v_add_f64 v[56:57], v[196:197], v[98:99]
	v_add_f64 v[58:59], v[198:199], v[106:107]
	v_add_f64 v[82:83], v[202:203], v[174:175]
	v_add_f64 v[98:99], v[204:205], v[176:177]
	v_add_f64 v[36:37], v[36:37], v[100:101]
	v_add_f64 v[38:39], v[38:39], v[102:103]
	v_add_f64 v[100:101], v[122:123], v[178:179]
	v_add_f64 v[102:103], v[132:133], v[180:181]
	v_add_f64 v[62:63], v[62:63], v[104:105]
	v_add_f64 v[104:105], v[130:131], v[182:183]
	v_add_f64 v[106:107], v[206:207], v[184:185]
	v_add_f64 v[0:1], v[46:47], v[0:1]
	v_add_f64 v[44:45], v[44:45], v[48:49]
	v_add_f64 v[46:47], v[66:67], v[50:51]
	v_add_f64 v[48:49], v[124:125], v[110:111]
	v_add_f64 v[2:3], v[52:53], v[2:3]
	v_add_f64 v[18:19], v[22:23], v[18:19]
	v_add_f64 v[16:17], v[20:21], v[16:17]
	v_add_f64 v[20:21], v[194:195], v[24:25]
	v_add_f64 v[22:23], v[60:61], v[26:27]
	v_add_f64 v[24:25], v[118:119], v[28:29]
	v_add_f64 v[26:27], v[120:121], v[30:31]
	v_add_f64 v[28:29], v[200:201], v[56:57]
	v_add_f64 v[30:31], v[212:213], v[58:59]
	v_add_f64 v[50:51], v[54:55], v[82:83]
	v_add_f64 v[52:53], v[214:215], v[98:99]
	v_add_f64 v[36:37], v[126:127], v[36:37]
	v_add_f64 v[38:39], v[134:135], v[38:39]
	v_add_f64 v[54:55], v[208:209], v[100:101]
	v_add_f64 v[56:57], v[216:217], v[102:103]
	v_add_f64 v[58:59], v[138:139], v[62:63]
	v_add_f64 v[60:61], v[210:211], v[104:105]
	v_add_f64 v[62:63], v[218:219], v[106:107]
	v_add_f64 v[0:1], v[42:43], v[0:1]
	v_add_f64 v[40:41], v[40:41], v[44:45]
	v_add_f64 v[42:43], v[140:141], v[46:47]
	v_add_f64 v[44:45], v[136:137], v[48:49]
	v_add_f64 v[2:3], v[128:129], v[2:3]
	v_add_f64 v[14:15], v[18:19], v[14:15]
	v_add_f64 v[12:13], v[16:17], v[12:13]
	v_add_f64 v[16:17], v[64:65], v[20:21]
	v_add_f64 v[18:19], v[70:71], v[22:23]
	v_add_f64 v[20:21], v[142:143], v[24:25]
	v_add_f64 v[22:23], v[150:151], v[26:27]
	v_add_f64 v[24:25], v[220:221], v[28:29]
	v_add_f64 v[26:27], v[228:229], v[30:31]
	v_add_f64 v[28:29], v[222:223], v[50:51]
	v_add_f64 v[30:31], v[230:231], v[52:53]
	v_add_f64 v[36:37], v[144:145], v[36:37]
	v_add_f64 v[38:39], v[146:147], v[38:39]
	v_add_f64 v[46:47], v[224:225], v[54:55]
	v_add_f64 v[48:49], v[232:233], v[56:57]
	v_add_f64 v[50:51], v[148:149], v[58:59]
	v_add_f64 v[52:53], v[226:227], v[60:61]
	v_add_f64 v[54:55], v[234:235], v[62:63]
	v_add_f64 v[56:57], v[68:69], v[0:1]
	v_add_f64 v[58:59], v[72:73], v[40:41]
	v_add_f64 v[60:61], v[156:157], v[42:43]
	v_add_f64 v[44:45], v[154:155], v[44:45]
	v_add_f64 v[62:63], v[152:153], v[2:3]
	v_add_f64 v[64:65], v[14:15], v[10:11]
	v_add_f64 v[66:67], v[12:13], v[8:9]
	v_add_f64 v[0:1], v[32:33], v[16:17]
	v_add_f64 v[2:3], v[78:79], v[18:19]
	v_add_f64 v[8:9], v[34:35], v[20:21]
	v_add_f64 v[10:11], v[166:167], v[22:23]
	v_add_f64 v[12:13], v[74:75], v[24:25]
	v_add_f64 v[14:15], v[240:241], v[26:27]
	v_add_f64 v[16:17], v[160:161], v[28:29]
	v_add_f64 v[18:19], v[242:243], v[30:31]
	v_add_f64 v[20:21], v[158:159], v[36:37]
	v_add_f64 v[24:25], v[162:163], v[38:39]
	v_add_f64 v[28:29], v[236:237], v[46:47]
	v_add_f64 v[30:31], v[244:245], v[48:49]
	v_add_f64 v[32:33], v[164:165], v[50:51]
	v_add_f64 v[36:37], v[238:239], v[52:53]
	v_add_f64 v[38:39], v[246:247], v[54:55]
	v_add_f64 v[40:41], v[76:77], v[56:57]
	v_add_f64 v[42:43], v[80:81], v[58:59]
	v_add_f64 v[34:35], v[172:173], v[60:61]
	v_add_f64 v[26:27], v[170:171], v[44:45]
	v_add_f64 v[22:23], v[168:169], v[62:63]
	v_add_f64 v[44:45], v[64:65], v[6:7]
	v_add_f64 v[46:47], v[66:67], v[4:5]
	ds_write_b128 v86, v[0:3] offset:704
	ds_write_b128 v86, v[12:15] offset:1408
	ds_write_b128 v86, v[16:19] offset:2112
	ds_write_b128 v86, v[28:31] offset:2816
	ds_write_b128 v86, v[36:39] offset:3520
	ds_write_b128 v86, v[40:43] offset:4224
	ds_write_b128 v86, v[32:35] offset:4928
	ds_write_b128 v86, v[24:27] offset:5632
	ds_write_b128 v86, v[20:23] offset:6336
	ds_write_b128 v86, v[8:11] offset:7040
	ds_write_b128 v86, v[44:47]
	s_waitcnt lgkmcnt(0)
	s_barrier
	buffer_gl0_inv
	s_and_saveexec_b32 s0, vcc_lo
	s_cbranch_execz .LBB0_17
; %bb.16:
	v_mad_u64_u32 v[8:9], null, s2, v97, 0
	v_mad_u64_u32 v[10:11], null, s2, v96, 0
	;; [unrolled: 1-line block ×3, first 2 shown]
	v_add_co_u32 v31, vcc_lo, s12, v84
	v_mov_b32_e32 v0, v9
	v_add_co_ci_u32_e32 v32, vcc_lo, s13, v85, vcc_lo
	v_mov_b32_e32 v1, v11
	v_mad_u64_u32 v[19:20], null, s2, v92, 0
	v_mad_u64_u32 v[2:3], null, s3, v97, v[0:1]
	;; [unrolled: 1-line block ×3, first 2 shown]
	v_mov_b32_e32 v9, v2
	ds_read_b128 v[0:3], v86
	ds_read_b128 v[4:7], v86 offset:704
	v_lshlrev_b64 v[8:9], 4, v[8:9]
	v_mov_b32_e32 v11, v14
	v_mad_u64_u32 v[14:15], null, s2, v95, 0
	v_lshlrev_b64 v[10:11], 4, v[10:11]
	v_add_co_u32 v8, vcc_lo, v31, v8
	v_add_co_ci_u32_e32 v9, vcc_lo, v32, v9, vcc_lo
	v_mad_u64_u32 v[16:17], null, s3, v94, v[13:14]
	v_mad_u64_u32 v[17:18], null, s2, v93, 0
	v_add_co_u32 v10, vcc_lo, v31, v10
	v_add_co_ci_u32_e32 v11, vcc_lo, v32, v11, vcc_lo
	v_mov_b32_e32 v13, v16
	v_mad_u64_u32 v[15:16], null, s3, v95, v[15:16]
	s_waitcnt lgkmcnt(1)
	global_store_dwordx4 v[8:9], v[0:3], off
	s_waitcnt lgkmcnt(0)
	global_store_dwordx4 v[10:11], v[4:7], off
	v_mov_b32_e32 v2, v18
	v_lshlrev_b64 v[0:1], 4, v[12:13]
	v_mad_u64_u32 v[8:9], null, s3, v93, v[2:3]
	v_lshlrev_b64 v[10:11], 4, v[14:15]
	v_mov_b32_e32 v9, v20
	v_add_co_u32 v21, vcc_lo, v31, v0
	v_add_co_ci_u32_e32 v22, vcc_lo, v32, v1, vcc_lo
	v_mad_u64_u32 v[23:24], null, s3, v92, v[9:10]
	v_mad_u64_u32 v[24:25], null, s2, v91, 0
	v_mov_b32_e32 v18, v8
	ds_read_b128 v[0:3], v86 offset:1408
	ds_read_b128 v[4:7], v86 offset:2112
	v_add_co_u32 v26, vcc_lo, v31, v10
	v_mov_b32_e32 v20, v23
	v_lshlrev_b64 v[16:17], 4, v[17:18]
	v_mov_b32_e32 v18, v25
	v_add_co_ci_u32_e32 v27, vcc_lo, v32, v11, vcc_lo
	v_lshlrev_b64 v[19:20], 4, v[19:20]
	ds_read_b128 v[8:11], v86 offset:2816
	ds_read_b128 v[12:15], v86 offset:3520
	v_add_co_u32 v16, vcc_lo, v31, v16
	v_add_co_ci_u32_e32 v17, vcc_lo, v32, v17, vcc_lo
	v_mad_u64_u32 v[28:29], null, s3, v91, v[18:19]
	v_mad_u64_u32 v[29:30], null, s2, v90, 0
	v_add_co_u32 v18, vcc_lo, v31, v19
	s_waitcnt lgkmcnt(3)
	global_store_dwordx4 v[21:22], v[0:3], off
	v_add_co_ci_u32_e32 v19, vcc_lo, v32, v20, vcc_lo
	v_mov_b32_e32 v25, v28
	v_mov_b32_e32 v0, v30
	s_waitcnt lgkmcnt(2)
	global_store_dwordx4 v[26:27], v[4:7], off
	s_waitcnt lgkmcnt(1)
	global_store_dwordx4 v[16:17], v[8:11], off
	;; [unrolled: 2-line block ×3, first 2 shown]
	v_lshlrev_b64 v[1:2], 4, v[24:25]
	v_mad_u64_u32 v[8:9], null, s2, v89, 0
	v_mad_u64_u32 v[20:21], null, s2, v88, 0
	;; [unrolled: 1-line block ×4, first 2 shown]
	v_mov_b32_e32 v0, v9
	v_add_co_u32 v22, vcc_lo, v31, v1
	v_add_co_ci_u32_e32 v23, vcc_lo, v32, v2, vcc_lo
	v_mad_u64_u32 v[9:10], null, s3, v89, v[0:1]
	v_mov_b32_e32 v30, v3
	v_mov_b32_e32 v10, v21
	;; [unrolled: 1-line block ×3, first 2 shown]
	ds_read_b128 v[0:3], v86 offset:4224
	ds_read_b128 v[4:7], v86 offset:4928
	v_lshlrev_b64 v[11:12], 4, v[29:30]
	v_lshlrev_b64 v[28:29], 4, v[8:9]
	v_mad_u64_u32 v[14:15], null, s3, v88, v[10:11]
	v_mad_u64_u32 v[25:26], null, s3, v87, v[13:14]
	v_add_co_u32 v26, vcc_lo, v31, v11
	v_add_co_ci_u32_e32 v27, vcc_lo, v32, v12, vcc_lo
	v_mov_b32_e32 v21, v14
	ds_read_b128 v[8:11], v86 offset:5632
	ds_read_b128 v[12:15], v86 offset:6336
	;; [unrolled: 1-line block ×3, first 2 shown]
	v_add_co_u32 v28, vcc_lo, v31, v28
	v_lshlrev_b64 v[24:25], 4, v[24:25]
	v_lshlrev_b64 v[20:21], 4, v[20:21]
	v_add_co_ci_u32_e32 v29, vcc_lo, v32, v29, vcc_lo
	v_add_co_u32 v20, vcc_lo, v31, v20
	v_add_co_ci_u32_e32 v21, vcc_lo, v32, v21, vcc_lo
	v_add_co_u32 v24, vcc_lo, v31, v24
	v_add_co_ci_u32_e32 v25, vcc_lo, v32, v25, vcc_lo
	s_waitcnt lgkmcnt(4)
	global_store_dwordx4 v[22:23], v[0:3], off
	s_waitcnt lgkmcnt(3)
	global_store_dwordx4 v[26:27], v[4:7], off
	;; [unrolled: 2-line block ×5, first 2 shown]
.LBB0_17:
	s_endpgm
	.section	.rodata,"a",@progbits
	.p2align	6, 0x0
	.amdhsa_kernel fft_rtc_back_len484_factors_4_11_11_wgs_44_tpt_44_dp_ip_CI_sbrr_dirReg
		.amdhsa_group_segment_fixed_size 0
		.amdhsa_private_segment_fixed_size 0
		.amdhsa_kernarg_size 88
		.amdhsa_user_sgpr_count 6
		.amdhsa_user_sgpr_private_segment_buffer 1
		.amdhsa_user_sgpr_dispatch_ptr 0
		.amdhsa_user_sgpr_queue_ptr 0
		.amdhsa_user_sgpr_kernarg_segment_ptr 1
		.amdhsa_user_sgpr_dispatch_id 0
		.amdhsa_user_sgpr_flat_scratch_init 0
		.amdhsa_user_sgpr_private_segment_size 0
		.amdhsa_wavefront_size32 1
		.amdhsa_uses_dynamic_stack 0
		.amdhsa_system_sgpr_private_segment_wavefront_offset 0
		.amdhsa_system_sgpr_workgroup_id_x 1
		.amdhsa_system_sgpr_workgroup_id_y 0
		.amdhsa_system_sgpr_workgroup_id_z 0
		.amdhsa_system_sgpr_workgroup_info 0
		.amdhsa_system_vgpr_workitem_id 0
		.amdhsa_next_free_vgpr 252
		.amdhsa_next_free_sgpr 38
		.amdhsa_reserve_vcc 1
		.amdhsa_reserve_flat_scratch 0
		.amdhsa_float_round_mode_32 0
		.amdhsa_float_round_mode_16_64 0
		.amdhsa_float_denorm_mode_32 3
		.amdhsa_float_denorm_mode_16_64 3
		.amdhsa_dx10_clamp 1
		.amdhsa_ieee_mode 1
		.amdhsa_fp16_overflow 0
		.amdhsa_workgroup_processor_mode 1
		.amdhsa_memory_ordered 1
		.amdhsa_forward_progress 0
		.amdhsa_shared_vgpr_count 0
		.amdhsa_exception_fp_ieee_invalid_op 0
		.amdhsa_exception_fp_denorm_src 0
		.amdhsa_exception_fp_ieee_div_zero 0
		.amdhsa_exception_fp_ieee_overflow 0
		.amdhsa_exception_fp_ieee_underflow 0
		.amdhsa_exception_fp_ieee_inexact 0
		.amdhsa_exception_int_div_zero 0
	.end_amdhsa_kernel
	.text
.Lfunc_end0:
	.size	fft_rtc_back_len484_factors_4_11_11_wgs_44_tpt_44_dp_ip_CI_sbrr_dirReg, .Lfunc_end0-fft_rtc_back_len484_factors_4_11_11_wgs_44_tpt_44_dp_ip_CI_sbrr_dirReg
                                        ; -- End function
	.section	.AMDGPU.csdata,"",@progbits
; Kernel info:
; codeLenInByte = 9560
; NumSgprs: 40
; NumVgprs: 252
; ScratchSize: 0
; MemoryBound: 0
; FloatMode: 240
; IeeeMode: 1
; LDSByteSize: 0 bytes/workgroup (compile time only)
; SGPRBlocks: 4
; VGPRBlocks: 31
; NumSGPRsForWavesPerEU: 40
; NumVGPRsForWavesPerEU: 252
; Occupancy: 4
; WaveLimiterHint : 1
; COMPUTE_PGM_RSRC2:SCRATCH_EN: 0
; COMPUTE_PGM_RSRC2:USER_SGPR: 6
; COMPUTE_PGM_RSRC2:TRAP_HANDLER: 0
; COMPUTE_PGM_RSRC2:TGID_X_EN: 1
; COMPUTE_PGM_RSRC2:TGID_Y_EN: 0
; COMPUTE_PGM_RSRC2:TGID_Z_EN: 0
; COMPUTE_PGM_RSRC2:TIDIG_COMP_CNT: 0
	.text
	.p2alignl 6, 3214868480
	.fill 48, 4, 3214868480
	.type	__hip_cuid_8f65aae7d9849a18,@object ; @__hip_cuid_8f65aae7d9849a18
	.section	.bss,"aw",@nobits
	.globl	__hip_cuid_8f65aae7d9849a18
__hip_cuid_8f65aae7d9849a18:
	.byte	0                               ; 0x0
	.size	__hip_cuid_8f65aae7d9849a18, 1

	.ident	"AMD clang version 19.0.0git (https://github.com/RadeonOpenCompute/llvm-project roc-6.4.0 25133 c7fe45cf4b819c5991fe208aaa96edf142730f1d)"
	.section	".note.GNU-stack","",@progbits
	.addrsig
	.addrsig_sym __hip_cuid_8f65aae7d9849a18
	.amdgpu_metadata
---
amdhsa.kernels:
  - .args:
      - .actual_access:  read_only
        .address_space:  global
        .offset:         0
        .size:           8
        .value_kind:     global_buffer
      - .offset:         8
        .size:           8
        .value_kind:     by_value
      - .actual_access:  read_only
        .address_space:  global
        .offset:         16
        .size:           8
        .value_kind:     global_buffer
      - .actual_access:  read_only
        .address_space:  global
        .offset:         24
        .size:           8
        .value_kind:     global_buffer
      - .offset:         32
        .size:           8
        .value_kind:     by_value
      - .actual_access:  read_only
        .address_space:  global
        .offset:         40
        .size:           8
        .value_kind:     global_buffer
      - .actual_access:  read_only
        .address_space:  global
        .offset:         48
        .size:           8
        .value_kind:     global_buffer
      - .offset:         56
        .size:           4
        .value_kind:     by_value
      - .actual_access:  read_only
        .address_space:  global
        .offset:         64
        .size:           8
        .value_kind:     global_buffer
      - .actual_access:  read_only
        .address_space:  global
        .offset:         72
        .size:           8
        .value_kind:     global_buffer
      - .address_space:  global
        .offset:         80
        .size:           8
        .value_kind:     global_buffer
    .group_segment_fixed_size: 0
    .kernarg_segment_align: 8
    .kernarg_segment_size: 88
    .language:       OpenCL C
    .language_version:
      - 2
      - 0
    .max_flat_workgroup_size: 44
    .name:           fft_rtc_back_len484_factors_4_11_11_wgs_44_tpt_44_dp_ip_CI_sbrr_dirReg
    .private_segment_fixed_size: 0
    .sgpr_count:     40
    .sgpr_spill_count: 0
    .symbol:         fft_rtc_back_len484_factors_4_11_11_wgs_44_tpt_44_dp_ip_CI_sbrr_dirReg.kd
    .uniform_work_group_size: 1
    .uses_dynamic_stack: false
    .vgpr_count:     252
    .vgpr_spill_count: 0
    .wavefront_size: 32
    .workgroup_processor_mode: 1
amdhsa.target:   amdgcn-amd-amdhsa--gfx1030
amdhsa.version:
  - 1
  - 2
...

	.end_amdgpu_metadata
